;; amdgpu-corpus repo=zjin-lcf/HeCBench kind=compiled arch=gfx1250 opt=O3
	.amdgcn_target "amdgcn-amd-amdhsa--gfx1250"
	.amdhsa_code_object_version 6
	.section	.text._Z20RowwiseMomentsKernelIfEvlT_PKS0_PS0_S3_,"axG",@progbits,_Z20RowwiseMomentsKernelIfEvlT_PKS0_PS0_S3_,comdat
	.protected	_Z20RowwiseMomentsKernelIfEvlT_PKS0_PS0_S3_ ; -- Begin function _Z20RowwiseMomentsKernelIfEvlT_PKS0_PS0_S3_
	.globl	_Z20RowwiseMomentsKernelIfEvlT_PKS0_PS0_S3_
	.p2align	8
	.type	_Z20RowwiseMomentsKernelIfEvlT_PKS0_PS0_S3_,@function
_Z20RowwiseMomentsKernelIfEvlT_PKS0_PS0_S3_: ; @_Z20RowwiseMomentsKernelIfEvlT_PKS0_PS0_S3_
; %bb.0:
	s_clause 0x2
	s_load_b64 s[10:11], s[0:1], 0x0
	s_load_b128 s[4:7], s[0:1], 0x10
	s_load_b64 s[2:3], s[0:1], 0x20
	s_bfe_u32 s8, ttmp6, 0x4000c
	s_and_b32 s9, ttmp6, 15
	s_add_co_i32 s8, s8, 1
	v_mov_b64_e32 v[6:7], 0
	s_mul_i32 s8, ttmp9, s8
	v_mov_b64_e32 v[2:3], 0
	s_getreg_b32 s12, hwreg(HW_REG_IB_STS2, 6, 4)
	v_mov_b32_e32 v1, 0
	s_add_co_i32 s8, s9, s8
	s_cmp_eq_u32 s12, 0
	s_mov_b32 s9, 0
	s_cselect_b32 s8, ttmp9, s8
	s_mov_b32 s16, exec_lo
	s_wait_kmcnt 0x0
	v_cmpx_gt_i64_e64 s[10:11], v[0:1]
	s_cbranch_execz .LBB0_4
; %bb.1:
	s_load_b32 s12, s[0:1], 0x34
	s_mul_u64 s[14:15], s[10:11], s[8:9]
	v_dual_mov_b32 v5, 0 :: v_dual_lshlrev_b32 v4, 2, v0
	s_lshl_b64 s[18:19], s[14:15], 2
	v_mov_b64_e32 v[8:9], v[0:1]
	s_add_nc_u64 s[4:5], s[4:5], s[18:19]
	s_mov_b32 s13, s9
	v_add_nc_u64_e32 v[10:11], s[4:5], v[4:5]
	v_mov_b32_e32 v3, v5
	s_mov_b32 s15, s9
	s_mov_b64 s[4:5], 0
	s_mov_b32 s17, s9
	s_wait_kmcnt 0x0
	s_and_b32 s12, s12, 0xffff
	s_delay_alu instid0(SALU_CYCLE_1)
	s_lshl_b32 s14, s12, 2
.LBB0_2:                                ; =>This Inner Loop Header: Depth=1
	global_load_b32 v2, v[10:11], off
	s_add_nc_u64 s[4:5], s[4:5], 1
	v_add_nc_u64_e32 v[8:9], s[12:13], v[8:9]
	s_clz_i32_u32 s18, s5
	s_wait_xcnt 0x0
	v_add_nc_u64_e32 v[10:11], s[14:15], v[10:11]
	s_min_u32 s20, s18, 32
	s_delay_alu instid0(SALU_CYCLE_1) | instskip(NEXT) | instid1(SALU_CYCLE_1)
	s_lshl_b64 s[18:19], s[4:5], s20
	s_min_u32 s18, s18, 1
	s_delay_alu instid0(SALU_CYCLE_1) | instskip(SKIP_2) | instid1(SALU_CYCLE_3)
	s_or_b32 s18, s19, s18
	s_sub_co_i32 s19, 32, s20
	s_cvt_f32_u32 s18, s18
	v_ldexp_f32 v1, s18, s19
	s_wait_loadcnt 0x0
	v_sub_f32_e32 v4, v2, v3
	s_delay_alu instid0(VALU_DEP_1) | instskip(SKIP_1) | instid1(VALU_DEP_2)
	v_div_scale_f32 v6, null, v1, v1, v4
	v_div_scale_f32 v13, vcc_lo, v4, v1, v4
	v_rcp_f32_e32 v7, v6
	v_nop
	s_delay_alu instid0(TRANS32_DEP_1) | instskip(NEXT) | instid1(VALU_DEP_1)
	v_fma_f32 v12, -v6, v7, 1.0
	v_fmac_f32_e32 v7, v12, v7
	s_delay_alu instid0(VALU_DEP_1) | instskip(NEXT) | instid1(VALU_DEP_1)
	v_mul_f32_e32 v12, v13, v7
	v_fma_f32 v14, -v6, v12, v13
	s_delay_alu instid0(VALU_DEP_1) | instskip(NEXT) | instid1(VALU_DEP_1)
	v_fmac_f32_e32 v12, v14, v7
	v_fma_f32 v6, -v6, v12, v13
	s_delay_alu instid0(VALU_DEP_1) | instskip(SKIP_1) | instid1(VALU_DEP_2)
	v_div_fmas_f32 v6, v6, v7, v12
	v_cmp_le_i64_e32 vcc_lo, s[10:11], v[8:9]
	v_div_fixup_f32 v6, v6, v1, v4
	s_or_b32 s17, vcc_lo, s17
	s_delay_alu instid0(VALU_DEP_1) | instskip(SKIP_1) | instid1(VALU_DEP_2)
	v_add_f32_e32 v3, v3, v6
	v_mov_b64_e32 v[6:7], s[4:5]
	v_sub_f32_e32 v2, v2, v3
	s_delay_alu instid0(VALU_DEP_1)
	v_fmac_f32_e32 v5, v4, v2
	s_and_not1_b32 exec_lo, exec_lo, s17
	s_cbranch_execnz .LBB0_2
; %bb.3:
	s_or_b32 exec_lo, exec_lo, s17
	s_delay_alu instid0(VALU_DEP_1)
	v_mov_b32_e32 v2, v5
.LBB0_4:
	s_or_b32 exec_lo, exec_lo, s16
	v_mbcnt_lo_u32_b32 v13, -1, 0
	s_mov_b32 s4, exec_lo
	s_delay_alu instid0(VALU_DEP_1)
	v_lshl_or_b32 v10, v13, 2, 64
	ds_bpermute_b32 v5, v10, v3
	ds_bpermute_b32 v4, v10, v2
	;; [unrolled: 1-line block ×5, first 2 shown]
	v_cmpx_neq_f32_e32 0, v1
	s_cbranch_execz .LBB0_8
; %bb.5:
	s_mov_b32 s5, exec_lo
	s_wait_dscnt 0x0
	v_cmpx_neq_f32_e32 0, v11
	s_cbranch_execz .LBB0_7
; %bb.6:
	v_add_f32_e32 v12, v1, v11
	s_delay_alu instid0(VALU_DEP_1) | instskip(SKIP_1) | instid1(VALU_DEP_2)
	v_div_scale_f32 v6, null, v12, v12, v11
	v_div_scale_f32 v14, vcc_lo, v11, v12, v11
	v_rcp_f32_e32 v7, v6
	v_nop
	s_delay_alu instid0(TRANS32_DEP_1) | instskip(NEXT) | instid1(VALU_DEP_1)
	v_fma_f32 v8, -v6, v7, 1.0
	v_fmac_f32_e32 v7, v8, v7
	s_delay_alu instid0(VALU_DEP_1) | instskip(NEXT) | instid1(VALU_DEP_1)
	v_mul_f32_e32 v15, v14, v7
	v_fma_f32 v8, -v6, v15, v14
	s_delay_alu instid0(VALU_DEP_1) | instskip(SKIP_2) | instid1(VALU_DEP_3)
	v_fmac_f32_e32 v15, v8, v7
	v_pk_add_f32 v[8:9], v[4:5], v[2:3] neg_lo:[0,1] neg_hi:[0,1]
	v_pk_add_f32 v[4:5], v[2:3], v[4:5]
	v_dual_mov_b32 v5, v3 :: v_dual_fma_f32 v6, -v6, v15, v14
	s_delay_alu instid0(VALU_DEP_3) | instskip(NEXT) | instid1(VALU_DEP_2)
	v_mul_f32_e32 v8, v9, v9
	v_div_fmas_f32 v6, v6, v7, v15
	s_delay_alu instid0(VALU_DEP_2) | instskip(NEXT) | instid1(VALU_DEP_2)
	v_dual_mul_f32 v8, v1, v8 :: v_dual_mov_b32 v1, v12
	v_div_fixup_f32 v2, v6, v12, v11
	v_mov_b64_e32 v[6:7], -1
	s_delay_alu instid0(VALU_DEP_2)
	v_pk_fma_f32 v[2:3], v[8:9], v[2:3], v[4:5] op_sel_hi:[1,0,1]
.LBB0_7:
	s_or_b32 exec_lo, exec_lo, s5
	s_delay_alu instid0(VALU_DEP_2) | instskip(NEXT) | instid1(VALU_DEP_2)
	v_mov_b64_e32 v[8:9], v[6:7]
	v_mov_b64_e32 v[4:5], v[2:3]
	v_mov_b32_e32 v11, v1
.LBB0_8:
	s_or_b32 exec_lo, exec_lo, s4
	v_cmp_gt_u32_e32 vcc_lo, 24, v13
	s_mov_b32 s4, exec_lo
	v_cndmask_b32_e64 v1, 0, 8, vcc_lo
	s_delay_alu instid0(VALU_DEP_1)
	v_add_lshl_u32 v1, v1, v13, 2
	s_wait_dscnt 0x4
	ds_bpermute_b32 v3, v1, v5
	s_wait_dscnt 0x4
	ds_bpermute_b32 v2, v1, v4
	s_wait_dscnt 0x4
	ds_bpermute_b32 v6, v1, v8
	s_wait_dscnt 0x4
	ds_bpermute_b32 v7, v1, v9
	s_wait_dscnt 0x4
	ds_bpermute_b32 v12, v1, v11
	v_cmpx_neq_f32_e32 0, v11
	s_cbranch_execz .LBB0_12
; %bb.9:
	s_mov_b32 s5, exec_lo
	s_wait_dscnt 0x0
	v_cmpx_neq_f32_e32 0, v12
	s_cbranch_execz .LBB0_11
; %bb.10:
	v_add_f32_e32 v14, v11, v12
	s_delay_alu instid0(VALU_DEP_1) | instskip(NEXT) | instid1(VALU_DEP_1)
	v_div_scale_f32 v8, null, v14, v14, v12
	v_rcp_f32_e32 v9, v8
	v_nop
	s_delay_alu instid0(TRANS32_DEP_1) | instskip(NEXT) | instid1(VALU_DEP_1)
	v_fma_f32 v6, -v8, v9, 1.0
	v_fmac_f32_e32 v9, v6, v9
	v_div_scale_f32 v15, vcc_lo, v12, v14, v12
	s_delay_alu instid0(VALU_DEP_1) | instskip(NEXT) | instid1(VALU_DEP_1)
	v_mul_f32_e32 v16, v15, v9
	v_fma_f32 v6, -v8, v16, v15
	s_delay_alu instid0(VALU_DEP_1) | instskip(SKIP_2) | instid1(VALU_DEP_3)
	v_fmac_f32_e32 v16, v6, v9
	v_pk_add_f32 v[6:7], v[2:3], v[4:5] neg_lo:[0,1] neg_hi:[0,1]
	v_pk_add_f32 v[2:3], v[4:5], v[2:3]
	v_dual_mov_b32 v3, v5 :: v_dual_fma_f32 v6, -v8, v16, v15
	s_delay_alu instid0(VALU_DEP_3) | instskip(NEXT) | instid1(VALU_DEP_2)
	v_mul_f32_e32 v8, v7, v7
	v_div_fmas_f32 v9, v6, v9, v16
	s_delay_alu instid0(VALU_DEP_2) | instskip(NEXT) | instid1(VALU_DEP_2)
	v_dual_mul_f32 v6, v11, v8 :: v_dual_mov_b32 v11, v14
	v_div_fixup_f32 v4, v9, v14, v12
	v_mov_b64_e32 v[8:9], -1
	s_delay_alu instid0(VALU_DEP_2)
	v_pk_fma_f32 v[4:5], v[6:7], v[4:5], v[2:3] op_sel_hi:[1,0,1]
.LBB0_11:
	s_or_b32 exec_lo, exec_lo, s5
	s_delay_alu instid0(VALU_DEP_2) | instskip(NEXT) | instid1(VALU_DEP_2)
	v_mov_b64_e32 v[6:7], v[8:9]
	v_mov_b64_e32 v[2:3], v[4:5]
	v_mov_b32_e32 v12, v11
.LBB0_12:
	s_or_b32 exec_lo, exec_lo, s4
	v_cmp_gt_u32_e32 vcc_lo, 28, v13
	s_mov_b32 s4, exec_lo
	v_cndmask_b32_e64 v4, 0, 4, vcc_lo
	s_delay_alu instid0(VALU_DEP_1)
	v_add_lshl_u32 v11, v4, v13, 2
	s_wait_dscnt 0x4
	ds_bpermute_b32 v5, v11, v3
	s_wait_dscnt 0x4
	ds_bpermute_b32 v4, v11, v2
	;; [unrolled: 2-line block ×5, first 2 shown]
	v_cmpx_neq_f32_e32 0, v12
	s_cbranch_execz .LBB0_16
; %bb.13:
	s_mov_b32 s5, exec_lo
	s_wait_dscnt 0x0
	v_cmpx_neq_f32_e32 0, v14
	s_cbranch_execz .LBB0_15
; %bb.14:
	v_add_f32_e32 v15, v12, v14
	s_delay_alu instid0(VALU_DEP_1) | instskip(SKIP_1) | instid1(VALU_DEP_2)
	v_div_scale_f32 v6, null, v15, v15, v14
	v_div_scale_f32 v16, vcc_lo, v14, v15, v14
	v_rcp_f32_e32 v7, v6
	v_nop
	s_delay_alu instid0(TRANS32_DEP_1) | instskip(NEXT) | instid1(VALU_DEP_1)
	v_fma_f32 v8, -v6, v7, 1.0
	v_fmac_f32_e32 v7, v8, v7
	s_delay_alu instid0(VALU_DEP_1) | instskip(NEXT) | instid1(VALU_DEP_1)
	v_mul_f32_e32 v17, v16, v7
	v_fma_f32 v8, -v6, v17, v16
	s_delay_alu instid0(VALU_DEP_1) | instskip(SKIP_2) | instid1(VALU_DEP_3)
	v_fmac_f32_e32 v17, v8, v7
	v_pk_add_f32 v[8:9], v[4:5], v[2:3] neg_lo:[0,1] neg_hi:[0,1]
	v_pk_add_f32 v[4:5], v[2:3], v[4:5]
	v_dual_mov_b32 v5, v3 :: v_dual_fma_f32 v6, -v6, v17, v16
	s_delay_alu instid0(VALU_DEP_3) | instskip(NEXT) | instid1(VALU_DEP_2)
	v_mul_f32_e32 v8, v9, v9
	v_div_fmas_f32 v6, v6, v7, v17
	s_delay_alu instid0(VALU_DEP_2) | instskip(NEXT) | instid1(VALU_DEP_2)
	v_dual_mul_f32 v8, v12, v8 :: v_dual_mov_b32 v12, v15
	v_div_fixup_f32 v2, v6, v15, v14
	v_mov_b64_e32 v[6:7], -1
	s_delay_alu instid0(VALU_DEP_2)
	v_pk_fma_f32 v[2:3], v[8:9], v[2:3], v[4:5] op_sel_hi:[1,0,1]
.LBB0_15:
	s_or_b32 exec_lo, exec_lo, s5
	s_delay_alu instid0(VALU_DEP_2) | instskip(NEXT) | instid1(VALU_DEP_2)
	v_mov_b64_e32 v[8:9], v[6:7]
	v_mov_b64_e32 v[4:5], v[2:3]
	v_mov_b32_e32 v14, v12
.LBB0_16:
	s_or_b32 exec_lo, exec_lo, s4
	v_cmp_gt_u32_e32 vcc_lo, 30, v13
	s_mov_b32 s4, exec_lo
	v_cndmask_b32_e64 v2, 0, 2, vcc_lo
	s_delay_alu instid0(VALU_DEP_1)
	v_add_lshl_u32 v12, v2, v13, 2
	s_wait_dscnt 0x4
	ds_bpermute_b32 v3, v12, v5
	s_wait_dscnt 0x4
	ds_bpermute_b32 v2, v12, v4
	;; [unrolled: 2-line block ×5, first 2 shown]
	v_cmpx_neq_f32_e32 0, v14
	s_cbranch_execz .LBB0_20
; %bb.17:
	s_mov_b32 s5, exec_lo
	s_wait_dscnt 0x0
	v_cmpx_neq_f32_e32 0, v15
	s_cbranch_execz .LBB0_19
; %bb.18:
	v_add_f32_e32 v16, v14, v15
	s_delay_alu instid0(VALU_DEP_1) | instskip(SKIP_1) | instid1(VALU_DEP_2)
	v_div_scale_f32 v8, null, v16, v16, v15
	v_div_scale_f32 v17, vcc_lo, v15, v16, v15
	v_rcp_f32_e32 v9, v8
	v_nop
	s_delay_alu instid0(TRANS32_DEP_1) | instskip(NEXT) | instid1(VALU_DEP_1)
	v_fma_f32 v6, -v8, v9, 1.0
	v_fmac_f32_e32 v9, v6, v9
	s_delay_alu instid0(VALU_DEP_1) | instskip(NEXT) | instid1(VALU_DEP_1)
	v_mul_f32_e32 v18, v17, v9
	v_fma_f32 v6, -v8, v18, v17
	s_delay_alu instid0(VALU_DEP_1) | instskip(SKIP_2) | instid1(VALU_DEP_3)
	v_fmac_f32_e32 v18, v6, v9
	v_pk_add_f32 v[6:7], v[2:3], v[4:5] neg_lo:[0,1] neg_hi:[0,1]
	v_pk_add_f32 v[2:3], v[4:5], v[2:3]
	v_dual_mov_b32 v3, v5 :: v_dual_fma_f32 v6, -v8, v18, v17
	s_delay_alu instid0(VALU_DEP_3) | instskip(NEXT) | instid1(VALU_DEP_2)
	v_mul_f32_e32 v8, v7, v7
	v_div_fmas_f32 v9, v6, v9, v18
	s_delay_alu instid0(VALU_DEP_2) | instskip(NEXT) | instid1(VALU_DEP_2)
	v_dual_mul_f32 v6, v14, v8 :: v_dual_mov_b32 v14, v16
	v_div_fixup_f32 v4, v9, v16, v15
	v_mov_b64_e32 v[8:9], -1
	s_delay_alu instid0(VALU_DEP_2)
	v_pk_fma_f32 v[4:5], v[6:7], v[4:5], v[2:3] op_sel_hi:[1,0,1]
.LBB0_19:
	s_or_b32 exec_lo, exec_lo, s5
	s_delay_alu instid0(VALU_DEP_2) | instskip(NEXT) | instid1(VALU_DEP_2)
	v_mov_b64_e32 v[6:7], v[8:9]
	v_mov_b64_e32 v[2:3], v[4:5]
	v_mov_b32_e32 v15, v14
.LBB0_20:
	s_or_b32 exec_lo, exec_lo, s4
	v_cmp_ne_u32_e32 vcc_lo, 31, v13
	s_mov_b32 s4, exec_lo
	v_add_co_ci_u32_e64 v4, null, 0, v13, vcc_lo
	s_delay_alu instid0(VALU_DEP_1)
	v_lshlrev_b32_e32 v13, 2, v4
	s_wait_dscnt 0x4
	ds_bpermute_b32 v5, v13, v3
	s_wait_dscnt 0x4
	ds_bpermute_b32 v4, v13, v2
	;; [unrolled: 2-line block ×5, first 2 shown]
	v_cmpx_neq_f32_e32 0, v15
	s_cbranch_execz .LBB0_24
; %bb.21:
	s_mov_b32 s5, exec_lo
	s_wait_dscnt 0x0
	v_cmpx_neq_f32_e32 0, v14
	s_cbranch_execz .LBB0_23
; %bb.22:
	v_add_f32_e32 v16, v15, v14
	s_delay_alu instid0(VALU_DEP_1) | instskip(NEXT) | instid1(VALU_DEP_1)
	v_div_scale_f32 v6, null, v16, v16, v14
	v_rcp_f32_e32 v7, v6
	v_nop
	s_delay_alu instid0(TRANS32_DEP_1) | instskip(NEXT) | instid1(VALU_DEP_1)
	v_fma_f32 v8, -v6, v7, 1.0
	v_fmac_f32_e32 v7, v8, v7
	v_div_scale_f32 v17, vcc_lo, v14, v16, v14
	s_delay_alu instid0(VALU_DEP_1) | instskip(NEXT) | instid1(VALU_DEP_1)
	v_mul_f32_e32 v18, v17, v7
	v_fma_f32 v8, -v6, v18, v17
	s_delay_alu instid0(VALU_DEP_1) | instskip(SKIP_2) | instid1(VALU_DEP_2)
	v_fmac_f32_e32 v18, v8, v7
	v_pk_add_f32 v[8:9], v[4:5], v[2:3] neg_lo:[0,1] neg_hi:[0,1]
	v_pk_add_f32 v[4:5], v[2:3], v[4:5]
	v_dual_mov_b32 v5, v3 :: v_dual_mul_f32 v8, v9, v9
	s_delay_alu instid0(VALU_DEP_1) | instskip(SKIP_1) | instid1(VALU_DEP_2)
	v_dual_fma_f32 v6, -v6, v18, v17 :: v_dual_mul_f32 v8, v15, v8
	v_mov_b32_e32 v15, v16
	v_div_fmas_f32 v6, v6, v7, v18
	s_delay_alu instid0(VALU_DEP_1) | instskip(SKIP_1) | instid1(VALU_DEP_2)
	v_div_fixup_f32 v2, v6, v16, v14
	v_mov_b64_e32 v[6:7], -1
	v_pk_fma_f32 v[2:3], v[8:9], v[2:3], v[4:5] op_sel_hi:[1,0,1]
.LBB0_23:
	s_or_b32 exec_lo, exec_lo, s5
	s_delay_alu instid0(VALU_DEP_2) | instskip(NEXT) | instid1(VALU_DEP_2)
	v_mov_b64_e32 v[8:9], v[6:7]
	v_mov_b64_e32 v[4:5], v[2:3]
	v_mov_b32_e32 v14, v15
.LBB0_24:
	s_or_b32 exec_lo, exec_lo, s4
	v_and_b32_e32 v2, 31, v0
	s_mov_b32 s4, exec_lo
	s_wait_dscnt 0x0
	s_barrier_signal -1
	s_barrier_wait -1
	v_cmpx_eq_u32_e32 0, v2
	s_cbranch_execz .LBB0_26
; %bb.25:
	v_dual_mov_b32 v6, v5 :: v_dual_lshrrev_b32 v3, 5, v0
	v_mov_b32_e32 v7, v4
	s_delay_alu instid0(VALU_DEP_2)
	v_mul_u32_u24_e32 v3, 24, v3
	ds_store_2addr_b64 v3, v[6:7], v[8:9] offset1:1
	ds_store_b32 v3, v14 offset:16
.LBB0_26:
	s_or_b32 exec_lo, exec_lo, s4
	s_wait_dscnt 0x0
	s_barrier_signal -1
	s_barrier_wait -1
	s_load_b32 s4, s[0:1], 0x34
	v_mul_u32_u24_e32 v4, 24, v2
	v_dual_mov_b32 v2, 0 :: v_dual_mov_b32 v3, 0
	s_wait_kmcnt 0x0
	s_bfe_u32 s4, s4, 0xb0005
	s_delay_alu instid0(SALU_CYCLE_1)
	v_cmp_gt_u32_e32 vcc_lo, s4, v0
	s_and_saveexec_b32 s4, vcc_lo
	s_cbranch_execnz .LBB0_55
; %bb.27:
	s_or_b32 exec_lo, exec_lo, s4
	s_and_saveexec_b32 s4, vcc_lo
	s_cbranch_execnz .LBB0_56
.LBB0_28:
	s_or_b32 exec_lo, exec_lo, s4
	v_mov_b32_e32 v8, 0
	s_and_saveexec_b32 s4, vcc_lo
.LBB0_29:
	ds_load_b32 v8, v4 offset:16
.LBB0_30:
	s_or_b32 exec_lo, exec_lo, s4
	s_delay_alu instid0(SALU_CYCLE_1)
	s_mov_b32 s4, exec_lo
	v_cmpx_gt_u32_e32 32, v0
	s_cbranch_execz .LBB0_52
; %bb.31:
	s_wait_dscnt 0x0
	ds_bpermute_b32 v5, v10, v3
	ds_bpermute_b32 v4, v10, v2
	;; [unrolled: 1-line block ×3, first 2 shown]
	s_mov_b32 s5, exec_lo
	v_cmpx_neq_f32_e32 0, v8
	s_cbranch_execz .LBB0_35
; %bb.32:
	s_mov_b32 s10, exec_lo
	s_wait_dscnt 0x0
	v_cmpx_neq_f32_e32 0, v6
	s_cbranch_execz .LBB0_34
; %bb.33:
	v_add_f32_e32 v7, v8, v6
	s_delay_alu instid0(VALU_DEP_1) | instskip(SKIP_1) | instid1(VALU_DEP_2)
	v_div_scale_f32 v9, null, v7, v7, v6
	v_div_scale_f32 v15, vcc_lo, v6, v7, v6
	v_rcp_f32_e32 v10, v9
	v_nop
	s_delay_alu instid0(TRANS32_DEP_1) | instskip(NEXT) | instid1(VALU_DEP_1)
	v_fma_f32 v14, -v9, v10, 1.0
	v_fmac_f32_e32 v10, v14, v10
	s_delay_alu instid0(VALU_DEP_1) | instskip(NEXT) | instid1(VALU_DEP_1)
	v_mul_f32_e32 v16, v15, v10
	v_fma_f32 v14, -v9, v16, v15
	s_delay_alu instid0(VALU_DEP_1) | instskip(NEXT) | instid1(VALU_DEP_1)
	v_fmac_f32_e32 v16, v14, v10
	v_fma_f32 v9, -v9, v16, v15
	v_pk_add_f32 v[14:15], v[4:5], v[2:3] neg_lo:[0,1] neg_hi:[0,1]
	v_add_f32_e32 v2, v2, v4
	s_delay_alu instid0(VALU_DEP_3) | instskip(NEXT) | instid1(VALU_DEP_3)
	v_div_fmas_f32 v5, v9, v10, v16
	v_mul_f32_e32 v9, v15, v15
	s_delay_alu instid0(VALU_DEP_2) | instskip(NEXT) | instid1(VALU_DEP_2)
	v_div_fixup_f32 v14, v5, v7, v6
	v_dual_mul_f32 v4, v8, v9 :: v_dual_mov_b32 v8, v7
	s_delay_alu instid0(VALU_DEP_2) | instskip(NEXT) | instid1(VALU_DEP_1)
	v_mov_b32_e32 v5, v14
	v_pk_fma_f32 v[2:3], v[14:15], v[4:5], v[2:3]
.LBB0_34:
	s_or_b32 exec_lo, exec_lo, s10
	s_delay_alu instid0(VALU_DEP_1)
	v_mov_b64_e32 v[4:5], v[2:3]
	v_mov_b32_e32 v6, v8
.LBB0_35:
	s_or_b32 exec_lo, exec_lo, s5
	s_wait_dscnt 0x2
	ds_bpermute_b32 v3, v1, v5
	s_wait_dscnt 0x2
	ds_bpermute_b32 v2, v1, v4
	;; [unrolled: 2-line block ×3, first 2 shown]
	s_mov_b32 s5, exec_lo
	v_cmpx_neq_f32_e32 0, v6
	s_cbranch_execz .LBB0_39
; %bb.36:
	s_mov_b32 s10, exec_lo
	s_wait_dscnt 0x0
	v_cmpx_neq_f32_e32 0, v1
	s_cbranch_execz .LBB0_38
; %bb.37:
	v_add_f32_e32 v7, v6, v1
	s_delay_alu instid0(VALU_DEP_1) | instskip(NEXT) | instid1(VALU_DEP_1)
	v_div_scale_f32 v10, null, v7, v7, v1
	v_rcp_f32_e32 v14, v10
	v_nop
	s_delay_alu instid0(TRANS32_DEP_1) | instskip(NEXT) | instid1(VALU_DEP_1)
	v_fma_f32 v8, -v10, v14, 1.0
	v_fmac_f32_e32 v14, v8, v14
	v_div_scale_f32 v15, vcc_lo, v1, v7, v1
	s_delay_alu instid0(VALU_DEP_1) | instskip(NEXT) | instid1(VALU_DEP_1)
	v_mul_f32_e32 v16, v15, v14
	v_fma_f32 v8, -v10, v16, v15
	s_delay_alu instid0(VALU_DEP_1) | instskip(SKIP_2) | instid1(VALU_DEP_3)
	v_fmac_f32_e32 v16, v8, v14
	v_pk_add_f32 v[8:9], v[2:3], v[4:5] neg_lo:[0,1] neg_hi:[0,1]
	v_pk_add_f32 v[2:3], v[4:5], v[2:3]
	v_dual_mov_b32 v3, v5 :: v_dual_fma_f32 v8, -v10, v16, v15
	s_delay_alu instid0(VALU_DEP_3) | instskip(NEXT) | instid1(VALU_DEP_2)
	v_mul_f32_e32 v10, v9, v9
	v_div_fmas_f32 v14, v8, v14, v16
	s_delay_alu instid0(VALU_DEP_2) | instskip(NEXT) | instid1(VALU_DEP_2)
	v_dual_mul_f32 v8, v6, v10 :: v_dual_mov_b32 v6, v7
	v_div_fixup_f32 v4, v14, v7, v1
	s_delay_alu instid0(VALU_DEP_1)
	v_pk_fma_f32 v[4:5], v[8:9], v[4:5], v[2:3] op_sel_hi:[1,0,1]
.LBB0_38:
	s_or_b32 exec_lo, exec_lo, s10
	s_delay_alu instid0(VALU_DEP_1)
	v_mov_b64_e32 v[2:3], v[4:5]
	v_mov_b32_e32 v1, v6
.LBB0_39:
	s_or_b32 exec_lo, exec_lo, s5
	s_wait_dscnt 0x2
	ds_bpermute_b32 v5, v11, v3
	s_wait_dscnt 0x2
	ds_bpermute_b32 v4, v11, v2
	;; [unrolled: 2-line block ×3, first 2 shown]
	s_mov_b32 s5, exec_lo
	v_cmpx_neq_f32_e32 0, v1
	s_cbranch_execz .LBB0_43
; %bb.40:
	s_mov_b32 s10, exec_lo
	s_wait_dscnt 0x0
	v_cmpx_neq_f32_e32 0, v8
	s_cbranch_execz .LBB0_42
; %bb.41:
	v_add_f32_e32 v9, v1, v8
	s_delay_alu instid0(VALU_DEP_1) | instskip(NEXT) | instid1(VALU_DEP_1)
	v_div_scale_f32 v10, null, v9, v9, v8
	v_rcp_f32_e32 v11, v10
	v_nop
	s_delay_alu instid0(TRANS32_DEP_1) | instskip(NEXT) | instid1(VALU_DEP_1)
	v_fma_f32 v6, -v10, v11, 1.0
	v_fmac_f32_e32 v11, v6, v11
	v_div_scale_f32 v14, vcc_lo, v8, v9, v8
	s_delay_alu instid0(VALU_DEP_1) | instskip(NEXT) | instid1(VALU_DEP_1)
	v_mul_f32_e32 v15, v14, v11
	v_fma_f32 v6, -v10, v15, v14
	s_delay_alu instid0(VALU_DEP_1) | instskip(SKIP_2) | instid1(VALU_DEP_3)
	v_fmac_f32_e32 v15, v6, v11
	v_pk_add_f32 v[6:7], v[4:5], v[2:3] neg_lo:[0,1] neg_hi:[0,1]
	v_pk_add_f32 v[4:5], v[2:3], v[4:5]
	v_dual_mov_b32 v5, v3 :: v_dual_fma_f32 v6, -v10, v15, v14
	s_delay_alu instid0(VALU_DEP_3) | instskip(NEXT) | instid1(VALU_DEP_2)
	v_mul_f32_e32 v10, v7, v7
	v_div_fmas_f32 v11, v6, v11, v15
	s_delay_alu instid0(VALU_DEP_2) | instskip(SKIP_1) | instid1(VALU_DEP_3)
	v_mul_f32_e32 v6, v1, v10
	v_mov_b32_e32 v1, v9
	v_div_fixup_f32 v2, v11, v9, v8
	s_delay_alu instid0(VALU_DEP_1)
	v_pk_fma_f32 v[2:3], v[6:7], v[2:3], v[4:5] op_sel_hi:[1,0,1]
.LBB0_42:
	s_or_b32 exec_lo, exec_lo, s10
	s_delay_alu instid0(VALU_DEP_1)
	v_mov_b64_e32 v[4:5], v[2:3]
	v_mov_b32_e32 v8, v1
.LBB0_43:
	s_or_b32 exec_lo, exec_lo, s5
	s_wait_dscnt 0x2
	ds_bpermute_b32 v7, v12, v5
	s_wait_dscnt 0x2
	ds_bpermute_b32 v6, v12, v4
	;; [unrolled: 2-line block ×3, first 2 shown]
	s_mov_b32 s5, exec_lo
	v_cmpx_neq_f32_e32 0, v8
	s_cbranch_execz .LBB0_47
; %bb.44:
	s_mov_b32 s10, exec_lo
	s_wait_dscnt 0x0
	v_cmpx_neq_f32_e32 0, v1
	s_cbranch_execz .LBB0_46
; %bb.45:
	v_add_f32_e32 v9, v8, v1
	s_delay_alu instid0(VALU_DEP_1) | instskip(NEXT) | instid1(VALU_DEP_1)
	v_div_scale_f32 v10, null, v9, v9, v1
	v_rcp_f32_e32 v11, v10
	v_nop
	s_delay_alu instid0(TRANS32_DEP_1) | instskip(NEXT) | instid1(VALU_DEP_1)
	v_fma_f32 v2, -v10, v11, 1.0
	v_fmac_f32_e32 v11, v2, v11
	v_div_scale_f32 v12, vcc_lo, v1, v9, v1
	s_delay_alu instid0(VALU_DEP_1) | instskip(NEXT) | instid1(VALU_DEP_1)
	v_mul_f32_e32 v14, v12, v11
	v_fma_f32 v2, -v10, v14, v12
	s_delay_alu instid0(VALU_DEP_1) | instskip(SKIP_2) | instid1(VALU_DEP_3)
	v_fmac_f32_e32 v14, v2, v11
	v_pk_add_f32 v[2:3], v[6:7], v[4:5] neg_lo:[0,1] neg_hi:[0,1]
	v_pk_add_f32 v[6:7], v[4:5], v[6:7]
	v_dual_mov_b32 v7, v5 :: v_dual_fma_f32 v2, -v10, v14, v12
	s_delay_alu instid0(VALU_DEP_3) | instskip(NEXT) | instid1(VALU_DEP_2)
	v_mul_f32_e32 v10, v3, v3
	v_div_fmas_f32 v11, v2, v11, v14
	s_delay_alu instid0(VALU_DEP_2) | instskip(NEXT) | instid1(VALU_DEP_2)
	v_dual_mul_f32 v2, v8, v10 :: v_dual_mov_b32 v8, v9
	v_div_fixup_f32 v4, v11, v9, v1
	s_delay_alu instid0(VALU_DEP_1)
	v_pk_fma_f32 v[4:5], v[2:3], v[4:5], v[6:7] op_sel_hi:[1,0,1]
.LBB0_46:
	s_or_b32 exec_lo, exec_lo, s10
	s_delay_alu instid0(VALU_DEP_1)
	v_mov_b64_e32 v[6:7], v[4:5]
	v_mov_b32_e32 v1, v8
.LBB0_47:
	s_or_b32 exec_lo, exec_lo, s5
	s_wait_dscnt 0x2
	ds_bpermute_b32 v3, v13, v7
	s_wait_dscnt 0x2
	ds_bpermute_b32 v2, v13, v6
	;; [unrolled: 2-line block ×3, first 2 shown]
	s_mov_b32 s5, exec_lo
	v_cmpx_neq_f32_e32 0, v1
	s_cbranch_execz .LBB0_51
; %bb.48:
	s_mov_b32 s10, exec_lo
	s_wait_dscnt 0x0
	v_cmpx_neq_f32_e32 0, v8
	s_cbranch_execz .LBB0_50
; %bb.49:
	v_add_f32_e32 v9, v1, v8
	s_delay_alu instid0(VALU_DEP_1) | instskip(NEXT) | instid1(VALU_DEP_1)
	v_div_scale_f32 v10, null, v9, v9, v8
	v_rcp_f32_e32 v11, v10
	v_nop
	s_delay_alu instid0(TRANS32_DEP_1) | instskip(NEXT) | instid1(VALU_DEP_1)
	v_fma_f32 v4, -v10, v11, 1.0
	v_fmac_f32_e32 v11, v4, v11
	v_div_scale_f32 v12, vcc_lo, v8, v9, v8
	s_delay_alu instid0(VALU_DEP_1) | instskip(NEXT) | instid1(VALU_DEP_1)
	v_mul_f32_e32 v13, v12, v11
	v_fma_f32 v4, -v10, v13, v12
	s_delay_alu instid0(VALU_DEP_1) | instskip(SKIP_2) | instid1(VALU_DEP_3)
	v_fmac_f32_e32 v13, v4, v11
	v_pk_add_f32 v[4:5], v[2:3], v[6:7] neg_lo:[0,1] neg_hi:[0,1]
	v_pk_add_f32 v[2:3], v[6:7], v[2:3]
	v_dual_mov_b32 v3, v7 :: v_dual_fma_f32 v4, -v10, v13, v12
	s_delay_alu instid0(VALU_DEP_3) | instskip(NEXT) | instid1(VALU_DEP_2)
	v_mul_f32_e32 v10, v5, v5
	v_div_fmas_f32 v11, v4, v11, v13
	s_delay_alu instid0(VALU_DEP_2) | instskip(SKIP_1) | instid1(VALU_DEP_3)
	v_mul_f32_e32 v4, v1, v10
	v_mov_b32_e32 v1, v9
	v_div_fixup_f32 v6, v11, v9, v8
	s_delay_alu instid0(VALU_DEP_1)
	v_pk_fma_f32 v[6:7], v[4:5], v[6:7], v[2:3] op_sel_hi:[1,0,1]
.LBB0_50:
	s_or_b32 exec_lo, exec_lo, s10
	s_delay_alu instid0(VALU_DEP_1)
	v_mov_b64_e32 v[2:3], v[6:7]
	v_mov_b32_e32 v8, v1
.LBB0_51:
	s_or_b32 exec_lo, exec_lo, s5
.LBB0_52:
	s_delay_alu instid0(SALU_CYCLE_1) | instskip(NEXT) | instid1(SALU_CYCLE_1)
	s_or_b32 exec_lo, exec_lo, s4
	s_mov_b32 s4, exec_lo
	v_cmpx_eq_u32_e32 0, v0
	s_cbranch_execz .LBB0_54
; %bb.53:
	s_wait_dscnt 0x0
	v_max_num_f32_e32 v0, v8, v8
	s_load_b32 s0, s[0:1], 0x8
	v_mov_b64_e32 v[8:9], 0.5
	s_delay_alu instid0(VALU_DEP_2) | instskip(NEXT) | instid1(VALU_DEP_1)
	v_max_num_f32_e32 v0, 0, v0
	v_div_scale_f32 v1, null, v0, v0, v2
	v_div_scale_f32 v6, vcc_lo, v2, v0, v2
	s_delay_alu instid0(VALU_DEP_2) | instskip(SKIP_1) | instid1(TRANS32_DEP_1)
	v_rcp_f32_e32 v4, v1
	v_nop
	v_fma_f32 v5, -v1, v4, 1.0
	s_delay_alu instid0(VALU_DEP_1) | instskip(NEXT) | instid1(VALU_DEP_1)
	v_fmac_f32_e32 v4, v5, v4
	v_mul_f32_e32 v5, v6, v4
	s_delay_alu instid0(VALU_DEP_1) | instskip(NEXT) | instid1(VALU_DEP_1)
	v_fma_f32 v7, -v1, v5, v6
	v_fmac_f32_e32 v5, v7, v4
	s_delay_alu instid0(VALU_DEP_1) | instskip(NEXT) | instid1(VALU_DEP_1)
	v_fma_f32 v1, -v1, v5, v6
	v_div_fmas_f32 v1, v1, v4, v5
	s_delay_alu instid0(VALU_DEP_1) | instskip(SKIP_1) | instid1(VALU_DEP_1)
	v_div_fixup_f32 v0, v1, v0, v2
	s_wait_kmcnt 0x0
	v_add_f32_e32 v0, s0, v0
	s_lshl_b64 s[0:1], s[8:9], 2
	s_delay_alu instid0(SALU_CYCLE_1) | instskip(SKIP_1) | instid1(VALU_DEP_1)
	s_add_nc_u64 s[2:3], s[2:3], s[0:1]
	s_add_nc_u64 s[0:1], s[6:7], s[0:1]
	v_cvt_f64_f32_e32 v[0:1], v0
	s_delay_alu instid0(VALU_DEP_1) | instskip(SKIP_1) | instid1(TRANS32_DEP_1)
	v_rsq_f64_e32 v[4:5], v[0:1]
	v_nop
	v_mul_f64_e64 v[0:1], v[4:5], -v[0:1]
	v_cmp_class_f64_e64 vcc_lo, v[4:5], 0x180
	s_delay_alu instid0(VALU_DEP_2) | instskip(NEXT) | instid1(VALU_DEP_1)
	v_fma_f64 v[0:1], v[0:1], v[4:5], 1.0
	v_mul_f64_e32 v[6:7], v[4:5], v[0:1]
	v_fmamk_f64 v[0:1], v[0:1], 0x3fd80000, v[8:9]
	s_delay_alu instid0(VALU_DEP_1) | instskip(NEXT) | instid1(VALU_DEP_1)
	v_fma_f64 v[0:1], v[6:7], v[0:1], v[4:5]
	v_dual_cndmask_b32 v1, v5, v1 :: v_dual_cndmask_b32 v0, v4, v0
	s_delay_alu instid0(VALU_DEP_1)
	v_cvt_f32_f64_e32 v0, v[0:1]
	v_mov_b32_e32 v1, 0
	s_clause 0x1
	global_store_b32 v1, v0, s[2:3]
	global_store_b32 v1, v3, s[0:1]
.LBB0_54:
	s_endpgm
.LBB0_55:
	ds_load_b32 v3, v4
	s_or_b32 exec_lo, exec_lo, s4
	s_and_saveexec_b32 s4, vcc_lo
	s_cbranch_execz .LBB0_28
.LBB0_56:
	ds_load_b32 v2, v4 offset:4
	s_or_b32 exec_lo, exec_lo, s4
	v_mov_b32_e32 v8, 0
	s_and_saveexec_b32 s4, vcc_lo
	s_cbranch_execnz .LBB0_29
	s_branch .LBB0_30
	.section	.rodata,"a",@progbits
	.p2align	6, 0x0
	.amdhsa_kernel _Z20RowwiseMomentsKernelIfEvlT_PKS0_PS0_S3_
		.amdhsa_group_segment_fixed_size 768
		.amdhsa_private_segment_fixed_size 0
		.amdhsa_kernarg_size 296
		.amdhsa_user_sgpr_count 2
		.amdhsa_user_sgpr_dispatch_ptr 0
		.amdhsa_user_sgpr_queue_ptr 0
		.amdhsa_user_sgpr_kernarg_segment_ptr 1
		.amdhsa_user_sgpr_dispatch_id 0
		.amdhsa_user_sgpr_kernarg_preload_length 0
		.amdhsa_user_sgpr_kernarg_preload_offset 0
		.amdhsa_user_sgpr_private_segment_size 0
		.amdhsa_wavefront_size32 1
		.amdhsa_uses_dynamic_stack 0
		.amdhsa_enable_private_segment 0
		.amdhsa_system_sgpr_workgroup_id_x 1
		.amdhsa_system_sgpr_workgroup_id_y 0
		.amdhsa_system_sgpr_workgroup_id_z 0
		.amdhsa_system_sgpr_workgroup_info 0
		.amdhsa_system_vgpr_workitem_id 0
		.amdhsa_next_free_vgpr 19
		.amdhsa_next_free_sgpr 21
		.amdhsa_named_barrier_count 0
		.amdhsa_reserve_vcc 1
		.amdhsa_float_round_mode_32 0
		.amdhsa_float_round_mode_16_64 0
		.amdhsa_float_denorm_mode_32 3
		.amdhsa_float_denorm_mode_16_64 3
		.amdhsa_fp16_overflow 0
		.amdhsa_memory_ordered 1
		.amdhsa_forward_progress 1
		.amdhsa_inst_pref_size 28
		.amdhsa_round_robin_scheduling 0
		.amdhsa_exception_fp_ieee_invalid_op 0
		.amdhsa_exception_fp_denorm_src 0
		.amdhsa_exception_fp_ieee_div_zero 0
		.amdhsa_exception_fp_ieee_overflow 0
		.amdhsa_exception_fp_ieee_underflow 0
		.amdhsa_exception_fp_ieee_inexact 0
		.amdhsa_exception_int_div_zero 0
	.end_amdhsa_kernel
	.section	.text._Z20RowwiseMomentsKernelIfEvlT_PKS0_PS0_S3_,"axG",@progbits,_Z20RowwiseMomentsKernelIfEvlT_PKS0_PS0_S3_,comdat
.Lfunc_end0:
	.size	_Z20RowwiseMomentsKernelIfEvlT_PKS0_PS0_S3_, .Lfunc_end0-_Z20RowwiseMomentsKernelIfEvlT_PKS0_PS0_S3_
                                        ; -- End function
	.set _Z20RowwiseMomentsKernelIfEvlT_PKS0_PS0_S3_.num_vgpr, 19
	.set _Z20RowwiseMomentsKernelIfEvlT_PKS0_PS0_S3_.num_agpr, 0
	.set _Z20RowwiseMomentsKernelIfEvlT_PKS0_PS0_S3_.numbered_sgpr, 21
	.set _Z20RowwiseMomentsKernelIfEvlT_PKS0_PS0_S3_.num_named_barrier, 0
	.set _Z20RowwiseMomentsKernelIfEvlT_PKS0_PS0_S3_.private_seg_size, 0
	.set _Z20RowwiseMomentsKernelIfEvlT_PKS0_PS0_S3_.uses_vcc, 1
	.set _Z20RowwiseMomentsKernelIfEvlT_PKS0_PS0_S3_.uses_flat_scratch, 0
	.set _Z20RowwiseMomentsKernelIfEvlT_PKS0_PS0_S3_.has_dyn_sized_stack, 0
	.set _Z20RowwiseMomentsKernelIfEvlT_PKS0_PS0_S3_.has_recursion, 0
	.set _Z20RowwiseMomentsKernelIfEvlT_PKS0_PS0_S3_.has_indirect_call, 0
	.section	.AMDGPU.csdata,"",@progbits
; Kernel info:
; codeLenInByte = 3508
; TotalNumSgprs: 23
; NumVgprs: 19
; ScratchSize: 0
; MemoryBound: 0
; FloatMode: 240
; IeeeMode: 1
; LDSByteSize: 768 bytes/workgroup (compile time only)
; SGPRBlocks: 0
; VGPRBlocks: 1
; NumSGPRsForWavesPerEU: 23
; NumVGPRsForWavesPerEU: 19
; NamedBarCnt: 0
; Occupancy: 16
; WaveLimiterHint : 0
; COMPUTE_PGM_RSRC2:SCRATCH_EN: 0
; COMPUTE_PGM_RSRC2:USER_SGPR: 2
; COMPUTE_PGM_RSRC2:TRAP_HANDLER: 0
; COMPUTE_PGM_RSRC2:TGID_X_EN: 1
; COMPUTE_PGM_RSRC2:TGID_Y_EN: 0
; COMPUTE_PGM_RSRC2:TGID_Z_EN: 0
; COMPUTE_PGM_RSRC2:TIDIG_COMP_CNT: 0
	.section	.AMDGPU.gpr_maximums,"",@progbits
	.set amdgpu.max_num_vgpr, 0
	.set amdgpu.max_num_agpr, 0
	.set amdgpu.max_num_sgpr, 0
	.section	.AMDGPU.csdata,"",@progbits
	.type	__hip_cuid_b8c8e566584311b1,@object ; @__hip_cuid_b8c8e566584311b1
	.section	.bss,"aw",@nobits
	.globl	__hip_cuid_b8c8e566584311b1
__hip_cuid_b8c8e566584311b1:
	.byte	0                               ; 0x0
	.size	__hip_cuid_b8c8e566584311b1, 1

	.ident	"AMD clang version 22.0.0git (https://github.com/RadeonOpenCompute/llvm-project roc-7.2.4 26084 f58b06dce1f9c15707c5f808fd002e18c2accf7e)"
	.section	".note.GNU-stack","",@progbits
	.addrsig
	.addrsig_sym __hip_cuid_b8c8e566584311b1
	.amdgpu_metadata
---
amdhsa.kernels:
  - .args:
      - .offset:         0
        .size:           8
        .value_kind:     by_value
      - .offset:         8
        .size:           4
        .value_kind:     by_value
      - .address_space:  global
        .offset:         16
        .size:           8
        .value_kind:     global_buffer
      - .address_space:  global
        .offset:         24
        .size:           8
        .value_kind:     global_buffer
      - .address_space:  global
        .offset:         32
        .size:           8
        .value_kind:     global_buffer
      - .offset:         40
        .size:           4
        .value_kind:     hidden_block_count_x
      - .offset:         44
        .size:           4
        .value_kind:     hidden_block_count_y
      - .offset:         48
        .size:           4
        .value_kind:     hidden_block_count_z
      - .offset:         52
        .size:           2
        .value_kind:     hidden_group_size_x
      - .offset:         54
        .size:           2
        .value_kind:     hidden_group_size_y
      - .offset:         56
        .size:           2
        .value_kind:     hidden_group_size_z
      - .offset:         58
        .size:           2
        .value_kind:     hidden_remainder_x
      - .offset:         60
        .size:           2
        .value_kind:     hidden_remainder_y
      - .offset:         62
        .size:           2
        .value_kind:     hidden_remainder_z
      - .offset:         80
        .size:           8
        .value_kind:     hidden_global_offset_x
      - .offset:         88
        .size:           8
        .value_kind:     hidden_global_offset_y
      - .offset:         96
        .size:           8
        .value_kind:     hidden_global_offset_z
      - .offset:         104
        .size:           2
        .value_kind:     hidden_grid_dims
    .group_segment_fixed_size: 768
    .kernarg_segment_align: 8
    .kernarg_segment_size: 296
    .language:       OpenCL C
    .language_version:
      - 2
      - 0
    .max_flat_workgroup_size: 1024
    .name:           _Z20RowwiseMomentsKernelIfEvlT_PKS0_PS0_S3_
    .private_segment_fixed_size: 0
    .sgpr_count:     23
    .sgpr_spill_count: 0
    .symbol:         _Z20RowwiseMomentsKernelIfEvlT_PKS0_PS0_S3_.kd
    .uniform_work_group_size: 1
    .uses_dynamic_stack: false
    .vgpr_count:     19
    .vgpr_spill_count: 0
    .wavefront_size: 32
amdhsa.target:   amdgcn-amd-amdhsa--gfx1250
amdhsa.version:
  - 1
  - 2
...

	.end_amdgpu_metadata
